;; amdgpu-corpus repo=ROCm/rocFFT kind=compiled arch=gfx1201 opt=O3
	.text
	.amdgcn_target "amdgcn-amd-amdhsa--gfx1201"
	.amdhsa_code_object_version 6
	.protected	fft_rtc_back_len72_factors_8_3_3_wgs_63_tpt_9_halfLds_sp_ip_CI_unitstride_sbrr_dirReg ; -- Begin function fft_rtc_back_len72_factors_8_3_3_wgs_63_tpt_9_halfLds_sp_ip_CI_unitstride_sbrr_dirReg
	.globl	fft_rtc_back_len72_factors_8_3_3_wgs_63_tpt_9_halfLds_sp_ip_CI_unitstride_sbrr_dirReg
	.p2align	8
	.type	fft_rtc_back_len72_factors_8_3_3_wgs_63_tpt_9_halfLds_sp_ip_CI_unitstride_sbrr_dirReg,@function
fft_rtc_back_len72_factors_8_3_3_wgs_63_tpt_9_halfLds_sp_ip_CI_unitstride_sbrr_dirReg: ; @fft_rtc_back_len72_factors_8_3_3_wgs_63_tpt_9_halfLds_sp_ip_CI_unitstride_sbrr_dirReg
; %bb.0:
	s_load_b128 s[4:7], s[0:1], 0x0
	v_mul_u32_u24_e32 v1, 0x1c72, v0
	s_clause 0x1
	s_load_b64 s[8:9], s[0:1], 0x50
	s_load_b64 s[10:11], s[0:1], 0x18
	v_mov_b32_e32 v6, 0
	v_lshrrev_b32_e32 v1, 16, v1
	s_delay_alu instid0(VALU_DEP_1) | instskip(SKIP_1) | instid1(VALU_DEP_4)
	v_mad_co_u64_u32 v[4:5], null, ttmp9, 7, v[1:2]
	v_mov_b32_e32 v1, 0
	v_dual_mov_b32 v5, v6 :: v_dual_mov_b32 v2, 0
	s_delay_alu instid0(VALU_DEP_1) | instskip(SKIP_2) | instid1(VALU_DEP_1)
	v_dual_mov_b32 v11, v5 :: v_dual_mov_b32 v10, v4
	s_wait_kmcnt 0x0
	v_cmp_lt_u64_e64 s2, s[6:7], 2
	s_and_b32 vcc_lo, exec_lo, s2
	s_cbranch_vccnz .LBB0_8
; %bb.1:
	s_load_b64 s[2:3], s[0:1], 0x10
	v_mov_b32_e32 v1, 0
	v_dual_mov_b32 v2, 0 :: v_dual_mov_b32 v9, v5
	v_mov_b32_e32 v8, v4
	s_add_nc_u64 s[12:13], s[10:11], 8
	s_mov_b64 s[14:15], 1
	s_wait_kmcnt 0x0
	s_add_nc_u64 s[16:17], s[2:3], 8
	s_mov_b32 s3, 0
.LBB0_2:                                ; =>This Inner Loop Header: Depth=1
	s_load_b64 s[18:19], s[16:17], 0x0
                                        ; implicit-def: $vgpr10_vgpr11
	s_mov_b32 s2, exec_lo
	s_wait_kmcnt 0x0
	v_or_b32_e32 v7, s19, v9
	s_delay_alu instid0(VALU_DEP_1)
	v_cmpx_ne_u64_e32 0, v[6:7]
	s_wait_alu 0xfffe
	s_xor_b32 s20, exec_lo, s2
	s_cbranch_execz .LBB0_4
; %bb.3:                                ;   in Loop: Header=BB0_2 Depth=1
	s_cvt_f32_u32 s2, s18
	s_cvt_f32_u32 s21, s19
	s_sub_nc_u64 s[24:25], 0, s[18:19]
	s_wait_alu 0xfffe
	s_delay_alu instid0(SALU_CYCLE_1) | instskip(SKIP_1) | instid1(SALU_CYCLE_2)
	s_fmamk_f32 s2, s21, 0x4f800000, s2
	s_wait_alu 0xfffe
	v_s_rcp_f32 s2, s2
	s_delay_alu instid0(TRANS32_DEP_1) | instskip(SKIP_1) | instid1(SALU_CYCLE_2)
	s_mul_f32 s2, s2, 0x5f7ffffc
	s_wait_alu 0xfffe
	s_mul_f32 s21, s2, 0x2f800000
	s_wait_alu 0xfffe
	s_delay_alu instid0(SALU_CYCLE_2) | instskip(SKIP_1) | instid1(SALU_CYCLE_2)
	s_trunc_f32 s21, s21
	s_wait_alu 0xfffe
	s_fmamk_f32 s2, s21, 0xcf800000, s2
	s_cvt_u32_f32 s23, s21
	s_wait_alu 0xfffe
	s_delay_alu instid0(SALU_CYCLE_1) | instskip(SKIP_1) | instid1(SALU_CYCLE_2)
	s_cvt_u32_f32 s22, s2
	s_wait_alu 0xfffe
	s_mul_u64 s[26:27], s[24:25], s[22:23]
	s_wait_alu 0xfffe
	s_mul_hi_u32 s29, s22, s27
	s_mul_i32 s28, s22, s27
	s_mul_hi_u32 s2, s22, s26
	s_mul_i32 s30, s23, s26
	s_wait_alu 0xfffe
	s_add_nc_u64 s[28:29], s[2:3], s[28:29]
	s_mul_hi_u32 s21, s23, s26
	s_mul_hi_u32 s31, s23, s27
	s_add_co_u32 s2, s28, s30
	s_wait_alu 0xfffe
	s_add_co_ci_u32 s2, s29, s21
	s_mul_i32 s26, s23, s27
	s_add_co_ci_u32 s27, s31, 0
	s_wait_alu 0xfffe
	s_add_nc_u64 s[26:27], s[2:3], s[26:27]
	s_wait_alu 0xfffe
	v_add_co_u32 v3, s2, s22, s26
	s_delay_alu instid0(VALU_DEP_1) | instskip(SKIP_1) | instid1(VALU_DEP_1)
	s_cmp_lg_u32 s2, 0
	s_add_co_ci_u32 s23, s23, s27
	v_readfirstlane_b32 s22, v3
	s_wait_alu 0xfffe
	s_delay_alu instid0(VALU_DEP_1)
	s_mul_u64 s[24:25], s[24:25], s[22:23]
	s_wait_alu 0xfffe
	s_mul_hi_u32 s27, s22, s25
	s_mul_i32 s26, s22, s25
	s_mul_hi_u32 s2, s22, s24
	s_mul_i32 s28, s23, s24
	s_wait_alu 0xfffe
	s_add_nc_u64 s[26:27], s[2:3], s[26:27]
	s_mul_hi_u32 s21, s23, s24
	s_mul_hi_u32 s22, s23, s25
	s_wait_alu 0xfffe
	s_add_co_u32 s2, s26, s28
	s_add_co_ci_u32 s2, s27, s21
	s_mul_i32 s24, s23, s25
	s_add_co_ci_u32 s25, s22, 0
	s_wait_alu 0xfffe
	s_add_nc_u64 s[24:25], s[2:3], s[24:25]
	s_wait_alu 0xfffe
	v_add_co_u32 v3, s2, v3, s24
	s_delay_alu instid0(VALU_DEP_1) | instskip(SKIP_1) | instid1(VALU_DEP_1)
	s_cmp_lg_u32 s2, 0
	s_add_co_ci_u32 s2, s23, s25
	v_mul_hi_u32 v5, v8, v3
	s_wait_alu 0xfffe
	v_mad_co_u64_u32 v[10:11], null, v8, s2, 0
	v_mad_co_u64_u32 v[12:13], null, v9, v3, 0
	;; [unrolled: 1-line block ×3, first 2 shown]
	s_delay_alu instid0(VALU_DEP_3) | instskip(SKIP_1) | instid1(VALU_DEP_4)
	v_add_co_u32 v3, vcc_lo, v5, v10
	s_wait_alu 0xfffd
	v_add_co_ci_u32_e32 v5, vcc_lo, 0, v11, vcc_lo
	s_delay_alu instid0(VALU_DEP_2) | instskip(SKIP_1) | instid1(VALU_DEP_2)
	v_add_co_u32 v3, vcc_lo, v3, v12
	s_wait_alu 0xfffd
	v_add_co_ci_u32_e32 v3, vcc_lo, v5, v13, vcc_lo
	s_wait_alu 0xfffd
	v_add_co_ci_u32_e32 v5, vcc_lo, 0, v15, vcc_lo
	s_delay_alu instid0(VALU_DEP_2) | instskip(SKIP_1) | instid1(VALU_DEP_2)
	v_add_co_u32 v3, vcc_lo, v3, v14
	s_wait_alu 0xfffd
	v_add_co_ci_u32_e32 v5, vcc_lo, 0, v5, vcc_lo
	s_delay_alu instid0(VALU_DEP_2) | instskip(SKIP_1) | instid1(VALU_DEP_3)
	v_mul_lo_u32 v7, s19, v3
	v_mad_co_u64_u32 v[10:11], null, s18, v3, 0
	v_mul_lo_u32 v12, s18, v5
	s_delay_alu instid0(VALU_DEP_2) | instskip(NEXT) | instid1(VALU_DEP_2)
	v_sub_co_u32 v10, vcc_lo, v8, v10
	v_add3_u32 v7, v11, v12, v7
	s_delay_alu instid0(VALU_DEP_1) | instskip(SKIP_1) | instid1(VALU_DEP_1)
	v_sub_nc_u32_e32 v11, v9, v7
	s_wait_alu 0xfffd
	v_subrev_co_ci_u32_e64 v11, s2, s19, v11, vcc_lo
	v_add_co_u32 v12, s2, v3, 2
	s_wait_alu 0xf1ff
	v_add_co_ci_u32_e64 v13, s2, 0, v5, s2
	v_sub_co_u32 v14, s2, v10, s18
	v_sub_co_ci_u32_e32 v7, vcc_lo, v9, v7, vcc_lo
	s_wait_alu 0xf1ff
	v_subrev_co_ci_u32_e64 v11, s2, 0, v11, s2
	s_delay_alu instid0(VALU_DEP_3) | instskip(NEXT) | instid1(VALU_DEP_3)
	v_cmp_le_u32_e32 vcc_lo, s18, v14
	v_cmp_eq_u32_e64 s2, s19, v7
	s_wait_alu 0xfffd
	v_cndmask_b32_e64 v14, 0, -1, vcc_lo
	v_cmp_le_u32_e32 vcc_lo, s19, v11
	s_wait_alu 0xfffd
	v_cndmask_b32_e64 v15, 0, -1, vcc_lo
	v_cmp_le_u32_e32 vcc_lo, s18, v10
	;; [unrolled: 3-line block ×3, first 2 shown]
	s_wait_alu 0xfffd
	v_cndmask_b32_e64 v16, 0, -1, vcc_lo
	v_cmp_eq_u32_e32 vcc_lo, s19, v11
	s_wait_alu 0xf1ff
	s_delay_alu instid0(VALU_DEP_2)
	v_cndmask_b32_e64 v7, v16, v10, s2
	s_wait_alu 0xfffd
	v_cndmask_b32_e32 v11, v15, v14, vcc_lo
	v_add_co_u32 v14, vcc_lo, v3, 1
	s_wait_alu 0xfffd
	v_add_co_ci_u32_e32 v15, vcc_lo, 0, v5, vcc_lo
	s_delay_alu instid0(VALU_DEP_3) | instskip(SKIP_2) | instid1(VALU_DEP_3)
	v_cmp_ne_u32_e32 vcc_lo, 0, v11
	s_wait_alu 0xfffd
	v_cndmask_b32_e32 v12, v14, v12, vcc_lo
	v_cndmask_b32_e32 v10, v15, v13, vcc_lo
	v_cmp_ne_u32_e32 vcc_lo, 0, v7
	s_wait_alu 0xfffd
	s_delay_alu instid0(VALU_DEP_2)
	v_dual_cndmask_b32 v11, v5, v10 :: v_dual_cndmask_b32 v10, v3, v12
.LBB0_4:                                ;   in Loop: Header=BB0_2 Depth=1
	s_wait_alu 0xfffe
	s_and_not1_saveexec_b32 s2, s20
	s_cbranch_execz .LBB0_6
; %bb.5:                                ;   in Loop: Header=BB0_2 Depth=1
	v_cvt_f32_u32_e32 v3, s18
	s_sub_co_i32 s20, 0, s18
	v_mov_b32_e32 v11, v6
	s_delay_alu instid0(VALU_DEP_2) | instskip(NEXT) | instid1(TRANS32_DEP_1)
	v_rcp_iflag_f32_e32 v3, v3
	v_mul_f32_e32 v3, 0x4f7ffffe, v3
	s_delay_alu instid0(VALU_DEP_1) | instskip(SKIP_1) | instid1(VALU_DEP_1)
	v_cvt_u32_f32_e32 v3, v3
	s_wait_alu 0xfffe
	v_mul_lo_u32 v5, s20, v3
	s_delay_alu instid0(VALU_DEP_1) | instskip(NEXT) | instid1(VALU_DEP_1)
	v_mul_hi_u32 v5, v3, v5
	v_add_nc_u32_e32 v3, v3, v5
	s_delay_alu instid0(VALU_DEP_1) | instskip(NEXT) | instid1(VALU_DEP_1)
	v_mul_hi_u32 v3, v8, v3
	v_mul_lo_u32 v5, v3, s18
	v_add_nc_u32_e32 v7, 1, v3
	s_delay_alu instid0(VALU_DEP_2) | instskip(NEXT) | instid1(VALU_DEP_1)
	v_sub_nc_u32_e32 v5, v8, v5
	v_cmp_le_u32_e32 vcc_lo, s18, v5
	v_subrev_nc_u32_e32 v10, s18, v5
	s_wait_alu 0xfffd
	v_cndmask_b32_e32 v3, v3, v7, vcc_lo
	s_delay_alu instid0(VALU_DEP_1) | instskip(NEXT) | instid1(VALU_DEP_3)
	v_add_nc_u32_e32 v7, 1, v3
	v_cndmask_b32_e32 v5, v5, v10, vcc_lo
	s_delay_alu instid0(VALU_DEP_1) | instskip(SKIP_1) | instid1(VALU_DEP_3)
	v_cmp_le_u32_e32 vcc_lo, s18, v5
	s_wait_alu 0xfffd
	v_cndmask_b32_e32 v10, v3, v7, vcc_lo
.LBB0_6:                                ;   in Loop: Header=BB0_2 Depth=1
	s_wait_alu 0xfffe
	s_or_b32 exec_lo, exec_lo, s2
	s_load_b64 s[20:21], s[12:13], 0x0
	v_mul_lo_u32 v3, v11, s18
	v_mul_lo_u32 v5, v10, s19
	v_mad_co_u64_u32 v[12:13], null, v10, s18, 0
	s_add_nc_u64 s[14:15], s[14:15], 1
	s_add_nc_u64 s[12:13], s[12:13], 8
	s_wait_alu 0xfffe
	v_cmp_ge_u64_e64 s2, s[14:15], s[6:7]
	s_add_nc_u64 s[16:17], s[16:17], 8
	s_delay_alu instid0(VALU_DEP_2) | instskip(NEXT) | instid1(VALU_DEP_3)
	v_add3_u32 v3, v13, v5, v3
	v_sub_co_u32 v5, vcc_lo, v8, v12
	s_wait_alu 0xfffd
	s_delay_alu instid0(VALU_DEP_2) | instskip(SKIP_3) | instid1(VALU_DEP_2)
	v_sub_co_ci_u32_e32 v3, vcc_lo, v9, v3, vcc_lo
	s_and_b32 vcc_lo, exec_lo, s2
	s_wait_kmcnt 0x0
	v_mul_lo_u32 v7, s21, v5
	v_mul_lo_u32 v3, s20, v3
	v_mad_co_u64_u32 v[1:2], null, s20, v5, v[1:2]
	s_delay_alu instid0(VALU_DEP_1)
	v_add3_u32 v2, v7, v2, v3
	s_wait_alu 0xfffe
	s_cbranch_vccnz .LBB0_8
; %bb.7:                                ;   in Loop: Header=BB0_2 Depth=1
	v_dual_mov_b32 v8, v10 :: v_dual_mov_b32 v9, v11
	s_branch .LBB0_2
.LBB0_8:
	s_lshl_b64 s[2:3], s[6:7], 3
	v_mul_hi_u32 v3, 0x1c71c71d, v0
	s_wait_alu 0xfffe
	s_add_nc_u64 s[2:3], s[10:11], s[2:3]
	v_mov_b32_e32 v5, 0
	s_load_b64 s[2:3], s[2:3], 0x0
	s_load_b64 s[0:1], s[0:1], 0x20
	v_mov_b32_e32 v6, 0
                                        ; implicit-def: $vgpr17
                                        ; implicit-def: $vgpr21
                                        ; implicit-def: $vgpr19
	s_delay_alu instid0(VALU_DEP_3) | instskip(NEXT) | instid1(VALU_DEP_2)
	v_mul_u32_u24_e32 v3, 9, v3
	v_dual_mov_b32 v13, v6 :: v_dual_mov_b32 v12, v5
	v_dual_mov_b32 v15, v6 :: v_dual_mov_b32 v14, v5
	s_delay_alu instid0(VALU_DEP_3)
	v_sub_nc_u32_e32 v0, v0, v3
	s_wait_kmcnt 0x0
	v_mul_lo_u32 v7, s2, v11
	v_mul_lo_u32 v8, s3, v10
	v_mad_co_u64_u32 v[1:2], null, s2, v10, v[1:2]
	v_cmp_gt_u64_e64 s0, s[0:1], v[10:11]
                                        ; implicit-def: $vgpr11
	s_delay_alu instid0(VALU_DEP_2) | instskip(SKIP_1) | instid1(VALU_DEP_2)
	v_add3_u32 v2, v8, v2, v7
	v_dual_mov_b32 v8, v6 :: v_dual_mov_b32 v7, v5
	v_lshlrev_b64_e32 v[2:3], 3, v[1:2]
	s_delay_alu instid0(VALU_DEP_4)
	s_and_saveexec_b32 s1, s0
; %bb.9:
	v_mov_b32_e32 v1, 0
	s_delay_alu instid0(VALU_DEP_1) | instskip(NEXT) | instid1(VALU_DEP_3)
	v_lshlrev_b64_e32 v[5:6], 3, v[0:1]
	v_add_co_u32 v1, vcc_lo, s8, v2
	s_wait_alu 0xfffd
	v_add_co_ci_u32_e32 v7, vcc_lo, s9, v3, vcc_lo
	s_delay_alu instid0(VALU_DEP_2) | instskip(SKIP_1) | instid1(VALU_DEP_2)
	v_add_co_u32 v18, vcc_lo, v1, v5
	s_wait_alu 0xfffd
	v_add_co_ci_u32_e32 v19, vcc_lo, v7, v6, vcc_lo
	s_clause 0x7
	global_load_b64 v[5:6], v[18:19], off
	global_load_b64 v[12:13], v[18:19], off offset:72
	global_load_b64 v[7:8], v[18:19], off offset:144
	;; [unrolled: 1-line block ×7, first 2 shown]
; %bb.10:
	s_wait_alu 0xfffe
	s_or_b32 exec_lo, exec_lo, s1
	v_mul_hi_u32 v1, 0x24924925, v4
	s_wait_loadcnt 0x1
	v_dual_sub_f32 v10, v5, v10 :: v_dual_sub_f32 v23, v8, v21
	v_dual_sub_f32 v22, v7, v20 :: v_dual_sub_f32 v17, v13, v17
	s_wait_loadcnt 0x0
	v_dual_sub_f32 v16, v12, v16 :: v_dual_sub_f32 v19, v15, v19
	v_cmp_gt_u32_e32 vcc_lo, 6, v0
	v_sub_nc_u32_e32 v9, v4, v1
	s_delay_alu instid0(VALU_DEP_3) | instskip(NEXT) | instid1(VALU_DEP_2)
	v_fma_f32 v20, v12, 2.0, -v16
	v_lshrrev_b32_e32 v9, 1, v9
	s_delay_alu instid0(VALU_DEP_1) | instskip(SKIP_3) | instid1(VALU_DEP_4)
	v_dual_sub_f32 v18, v14, v18 :: v_dual_add_nc_u32 v1, v9, v1
	v_fma_f32 v9, v5, 2.0, -v10
	v_fma_f32 v5, v7, 2.0, -v22
	;; [unrolled: 1-line block ×4, first 2 shown]
	v_lshrrev_b32_e32 v1, 2, v1
	v_fma_f32 v13, v15, 2.0, -v19
	v_dual_add_f32 v14, v10, v23 :: v_dual_sub_f32 v27, v17, v18
	v_add_f32_e32 v24, v16, v19
	s_delay_alu instid0(VALU_DEP_4) | instskip(NEXT) | instid1(VALU_DEP_4)
	v_mul_lo_u32 v1, v1, 7
	v_sub_f32_e32 v15, v7, v13
	v_sub_f32_e32 v18, v9, v5
	v_fma_f32 v19, v10, 2.0, -v14
	v_fmamk_f32 v5, v24, 0x3f3504f3, v14
	v_sub_f32_e32 v12, v20, v12
	v_fma_f32 v25, v16, 2.0, -v24
	v_fma_f32 v16, v9, 2.0, -v18
	v_sub_nc_u32_e32 v1, v4, v1
	v_fmac_f32_e32 v5, 0x3f3504f3, v27
	v_fma_f32 v9, v20, 2.0, -v12
	v_fma_f32 v26, v17, 2.0, -v27
	v_fmamk_f32 v10, v25, 0xbf3504f3, v19
	v_mul_u32_u24_e32 v20, 0x48, v1
	s_delay_alu instid0(VALU_DEP_4) | instskip(SKIP_1) | instid1(VALU_DEP_4)
	v_dual_add_f32 v4, v18, v15 :: v_dual_sub_f32 v9, v16, v9
	v_fma_f32 v14, v14, 2.0, -v5
	v_dual_fmac_f32 v10, 0x3f3504f3, v26 :: v_dual_mul_f32 v27, 0x3f3504f3, v27
	s_delay_alu instid0(VALU_DEP_4) | instskip(NEXT) | instid1(VALU_DEP_4)
	v_lshl_add_u32 v1, v20, 2, 0
	v_fma_f32 v13, v18, 2.0, -v4
	v_fma_f32 v18, v16, 2.0, -v9
	s_delay_alu instid0(VALU_DEP_4)
	v_fma_f32 v19, v19, 2.0, -v10
	v_mul_f32_e32 v26, 0x3f3504f3, v26
	v_lshl_add_u32 v16, v0, 5, v1
	v_lshl_add_u32 v17, v0, 2, v1
	ds_store_2addr_b64 v16, v[18:19], v[13:14] offset1:1
	ds_store_2addr_b64 v16, v[9:10], v[4:5] offset0:2 offset1:3
	v_mad_i32_i24 v1, 0xffffffe4, v0, v16
	global_wb scope:SCOPE_SE
	s_wait_dscnt 0x0
	s_barrier_signal -1
	s_barrier_wait -1
	global_inv scope:SCOPE_SE
	ds_load_2addr_b32 v[9:10], v1 offset0:9 offset1:24
	ds_load_2addr_b32 v[13:14], v1 offset0:33 offset1:48
	ds_load_b32 v19, v17
	ds_load_b32 v21, v1 offset:228
	v_dual_mul_f32 v18, 0x3f3504f3, v25 :: v_dual_mul_f32 v25, 0x3f3504f3, v24
                                        ; implicit-def: $vgpr24
	s_and_saveexec_b32 s1, vcc_lo
	s_cbranch_execz .LBB0_12
; %bb.11:
	ds_load_2addr_b32 v[4:5], v1 offset0:18 offset1:42
	ds_load_b32 v24, v1 offset:264
.LBB0_12:
	s_wait_alu 0xfffe
	s_or_b32 exec_lo, exec_lo, s1
	v_sub_f32_e32 v11, v6, v11
	v_fma_f32 v8, v8, 2.0, -v23
	global_wb scope:SCOPE_SE
	s_wait_dscnt 0x0
	s_barrier_signal -1
	s_barrier_wait -1
	v_sub_f32_e32 v23, v11, v22
	global_inv scope:SCOPE_SE
	v_fma_f32 v28, v11, 2.0, -v23
	s_delay_alu instid0(VALU_DEP_1) | instskip(SKIP_2) | instid1(VALU_DEP_2)
	v_sub_f32_e32 v22, v28, v26
	v_fma_f32 v6, v6, 2.0, -v11
	v_fma_f32 v11, v7, 2.0, -v15
	v_dual_sub_f32 v8, v6, v8 :: v_dual_add_f32 v7, v23, v27
                                        ; implicit-def: $vgpr27
	s_delay_alu instid0(VALU_DEP_1) | instskip(NEXT) | instid1(VALU_DEP_2)
	v_fma_f32 v15, v6, 2.0, -v8
	v_dual_sub_f32 v6, v8, v12 :: v_dual_sub_f32 v7, v7, v25
	s_delay_alu instid0(VALU_DEP_2) | instskip(NEXT) | instid1(VALU_DEP_2)
	v_dual_sub_f32 v12, v22, v18 :: v_dual_sub_f32 v11, v15, v11
	v_fma_f32 v22, v8, 2.0, -v6
	s_delay_alu instid0(VALU_DEP_3) | instskip(NEXT) | instid1(VALU_DEP_3)
	v_fma_f32 v23, v23, 2.0, -v7
	v_fma_f32 v26, v28, 2.0, -v12
	s_delay_alu instid0(VALU_DEP_4)
	v_fma_f32 v25, v15, 2.0, -v11
	ds_store_2addr_b64 v16, v[25:26], v[22:23] offset1:1
	ds_store_2addr_b64 v16, v[11:12], v[6:7] offset0:2 offset1:3
	global_wb scope:SCOPE_SE
	s_wait_dscnt 0x0
	s_barrier_signal -1
	s_barrier_wait -1
	global_inv scope:SCOPE_SE
	ds_load_2addr_b32 v[11:12], v1 offset0:9 offset1:24
	ds_load_2addr_b32 v[15:16], v1 offset0:33 offset1:48
	ds_load_b32 v18, v17
	ds_load_b32 v8, v1 offset:228
	s_and_saveexec_b32 s1, vcc_lo
	s_cbranch_execz .LBB0_14
; %bb.13:
	ds_load_2addr_b32 v[6:7], v1 offset0:18 offset1:42
	ds_load_b32 v27, v1 offset:264
.LBB0_14:
	s_wait_alu 0xfffe
	s_or_b32 exec_lo, exec_lo, s1
	v_and_b32_e32 v25, 7, v0
	v_lshlrev_b32_e32 v20, 2, v20
	s_delay_alu instid0(VALU_DEP_2) | instskip(SKIP_3) | instid1(VALU_DEP_2)
	v_lshlrev_b32_e32 v26, 4, v25
	global_load_b128 v[30:33], v26, s[4:5]
	v_add_nc_u32_e32 v23, 9, v0
	v_add_nc_u32_e32 v22, 18, v0
	v_and_b32_e32 v28, 7, v23
	s_delay_alu instid0(VALU_DEP_2) | instskip(NEXT) | instid1(VALU_DEP_2)
	v_and_b32_e32 v29, 7, v22
	v_lshlrev_b32_e32 v26, 4, v28
	s_delay_alu instid0(VALU_DEP_2)
	v_lshlrev_b32_e32 v34, 4, v29
	s_clause 0x1
	global_load_b128 v[37:40], v26, s[4:5]
	global_load_b128 v[41:44], v34, s[4:5]
	v_lshrrev_b32_e32 v26, 3, v0
	v_lshrrev_b32_e32 v34, 3, v23
	global_wb scope:SCOPE_SE
	s_wait_loadcnt_dscnt 0x0
	s_barrier_signal -1
	s_barrier_wait -1
	v_mul_u32_u24_e32 v26, 24, v26
	v_mul_u32_u24_e32 v34, 24, v34
	global_inv scope:SCOPE_SE
	v_or_b32_e32 v35, v26, v25
	v_lshlrev_b32_e32 v25, 2, v29
	s_delay_alu instid0(VALU_DEP_2) | instskip(SKIP_3) | instid1(VALU_DEP_4)
	v_lshlrev_b32_e32 v29, 2, v35
	v_mul_f32_e32 v35, v16, v33
	v_mul_f32_e32 v33, v14, v33
	v_or_b32_e32 v34, v34, v28
	v_add3_u32 v28, 0, v29, v20
	v_lshl_or_b32 v26, v22, 2, 0xe0
	v_fmac_f32_e32 v35, v14, v32
	v_fma_f32 v32, v16, v32, -v33
	v_dual_mul_f32 v34, v12, v31 :: v_dual_lshlrev_b32 v29, 2, v34
	v_mul_f32_e32 v31, v10, v31
	s_delay_alu instid0(VALU_DEP_2) | instskip(NEXT) | instid1(VALU_DEP_2)
	v_fmac_f32_e32 v34, v10, v30
	v_fma_f32 v36, v12, v30, -v31
	v_mul_f32_e32 v14, v21, v40
	v_mul_f32_e32 v10, v15, v38
	;; [unrolled: 1-line block ×5, first 2 shown]
	s_delay_alu instid0(VALU_DEP_4) | instskip(SKIP_2) | instid1(VALU_DEP_4)
	v_dual_mul_f32 v31, v27, v44 :: v_dual_fmac_f32 v10, v13, v37
	v_mul_f32_e32 v12, v13, v38
	v_fmac_f32_e32 v30, v21, v39
	v_fma_f32 v33, v7, v41, -v33
	v_dual_add_f32 v7, v34, v35 :: v_dual_fmac_f32 v16, v5, v41
	v_fmac_f32_e32 v31, v24, v43
	v_dual_add_f32 v5, v19, v34 :: v_dual_mul_f32 v38, v24, v44
	v_fma_f32 v37, v15, v37, -v12
	v_fma_f32 v21, v8, v39, -v14
	v_dual_sub_f32 v8, v36, v32 :: v_dual_fmac_f32 v19, -0.5, v7
	s_delay_alu instid0(VALU_DEP_4) | instskip(SKIP_4) | instid1(VALU_DEP_4)
	v_add_f32_e32 v5, v5, v35
	v_fma_f32 v27, v27, v43, -v38
	v_dual_add_f32 v7, v9, v10 :: v_dual_add_f32 v14, v4, v16
	v_dual_add_f32 v12, v10, v30 :: v_dual_sub_f32 v13, v37, v21
	v_add_f32_e32 v15, v16, v31
	v_sub_f32_e32 v24, v33, v27
	v_add3_u32 v29, 0, v29, v20
	s_delay_alu instid0(VALU_DEP_4) | instskip(NEXT) | instid1(VALU_DEP_4)
	v_dual_fmac_f32 v9, -0.5, v12 :: v_dual_add_f32 v12, v7, v30
	v_fmac_f32_e32 v4, -0.5, v15
	v_dual_fmamk_f32 v38, v8, 0xbf5db3d7, v19 :: v_dual_add_f32 v7, v14, v31
	v_fmac_f32_e32 v19, 0x3f5db3d7, v8
	s_delay_alu instid0(VALU_DEP_4)
	v_fmamk_f32 v14, v13, 0xbf5db3d7, v9
	v_fmac_f32_e32 v9, 0x3f5db3d7, v13
	v_fmamk_f32 v8, v24, 0xbf5db3d7, v4
	v_fmac_f32_e32 v4, 0x3f5db3d7, v24
	ds_store_2addr_b32 v28, v5, v38 offset1:8
	ds_store_b32 v28, v19 offset:64
	ds_store_2addr_b32 v29, v12, v14 offset1:8
	ds_store_b32 v29, v9 offset:64
	s_and_saveexec_b32 s1, vcc_lo
	s_cbranch_execz .LBB0_16
; %bb.15:
	v_add3_u32 v5, 0, v26, v20
	v_add3_u32 v9, 0, v25, v20
	ds_store_b32 v5, v8
	ds_store_2addr_b32 v9, v7, v4 offset0:48 offset1:64
.LBB0_16:
	s_wait_alu 0xfffe
	s_or_b32 exec_lo, exec_lo, s1
	global_wb scope:SCOPE_SE
	s_wait_dscnt 0x0
	s_barrier_signal -1
	s_barrier_wait -1
	global_inv scope:SCOPE_SE
	ds_load_2addr_b32 v[12:13], v1 offset0:9 offset1:24
	ds_load_2addr_b32 v[14:15], v1 offset0:33 offset1:48
	ds_load_b32 v5, v17
	ds_load_b32 v24, v1 offset:228
	s_and_saveexec_b32 s1, vcc_lo
	s_cbranch_execz .LBB0_18
; %bb.17:
	ds_load_2addr_b32 v[7:8], v1 offset0:18 offset1:42
	ds_load_b32 v4, v1 offset:264
.LBB0_18:
	s_wait_alu 0xfffe
	s_or_b32 exec_lo, exec_lo, s1
	v_dual_add_f32 v9, v36, v32 :: v_dual_sub_f32 v34, v34, v35
	v_add_f32_e32 v19, v18, v36
	global_wb scope:SCOPE_SE
	s_wait_dscnt 0x0
	s_barrier_signal -1
	v_fmac_f32_e32 v18, -0.5, v9
	v_add_f32_e32 v35, v37, v21
	v_dual_add_f32 v9, v11, v37 :: v_dual_add_f32 v36, v33, v27
	s_delay_alu instid0(VALU_DEP_3) | instskip(NEXT) | instid1(VALU_DEP_3)
	v_dual_add_f32 v19, v19, v32 :: v_dual_fmamk_f32 v32, v34, 0x3f5db3d7, v18
	v_dual_fmac_f32 v18, 0xbf5db3d7, v34 :: v_dual_fmac_f32 v11, -0.5, v35
	v_sub_f32_e32 v10, v10, v30
	v_add_f32_e32 v30, v6, v33
	v_dual_fmac_f32 v6, -0.5, v36 :: v_dual_add_f32 v21, v9, v21
	s_delay_alu instid0(VALU_DEP_3) | instskip(SKIP_1) | instid1(VALU_DEP_4)
	v_dual_sub_f32 v16, v16, v31 :: v_dual_fmamk_f32 v31, v10, 0x3f5db3d7, v11
	v_fmac_f32_e32 v11, 0xbf5db3d7, v10
	v_add_f32_e32 v9, v30, v27
	s_barrier_wait -1
	s_delay_alu instid0(VALU_DEP_3)
	v_fmamk_f32 v10, v16, 0x3f5db3d7, v6
	v_fmac_f32_e32 v6, 0xbf5db3d7, v16
	global_inv scope:SCOPE_SE
	ds_store_2addr_b32 v28, v19, v32 offset1:8
	ds_store_b32 v28, v18 offset:64
	ds_store_2addr_b32 v29, v21, v31 offset1:8
	ds_store_b32 v29, v11 offset:64
	s_and_saveexec_b32 s1, vcc_lo
	s_cbranch_execz .LBB0_20
; %bb.19:
	v_add3_u32 v11, 0, v26, v20
	v_add3_u32 v16, 0, v25, v20
	ds_store_b32 v11, v10
	ds_store_2addr_b32 v16, v9, v6 offset0:48 offset1:64
.LBB0_20:
	s_wait_alu 0xfffe
	s_or_b32 exec_lo, exec_lo, s1
	global_wb scope:SCOPE_SE
	s_wait_dscnt 0x0
	s_barrier_signal -1
	s_barrier_wait -1
	global_inv scope:SCOPE_SE
	ds_load_2addr_b32 v[18:19], v1 offset0:9 offset1:24
	ds_load_2addr_b32 v[20:21], v1 offset0:33 offset1:48
	ds_load_b32 v11, v17
	ds_load_b32 v25, v1 offset:228
	s_and_saveexec_b32 s1, vcc_lo
	s_cbranch_execz .LBB0_22
; %bb.21:
	ds_load_2addr_b32 v[9:10], v1 offset0:18 offset1:42
	ds_load_b32 v6, v1 offset:264
.LBB0_22:
	s_wait_alu 0xfffe
	s_or_b32 exec_lo, exec_lo, s1
	s_and_saveexec_b32 s1, s0
	s_cbranch_execz .LBB0_25
; %bb.23:
	v_dual_mov_b32 v17, 0 :: v_dual_lshlrev_b32 v16, 1, v23
	s_delay_alu instid0(VALU_DEP_1) | instskip(SKIP_1) | instid1(VALU_DEP_1)
	v_lshlrev_b64_e32 v[26:27], 3, v[16:17]
	v_dual_mov_b32 v1, v17 :: v_dual_lshlrev_b32 v16, 1, v0
	v_lshlrev_b64_e32 v[30:31], 3, v[16:17]
	s_delay_alu instid0(VALU_DEP_3) | instskip(SKIP_1) | instid1(VALU_DEP_4)
	v_add_co_u32 v26, s0, s4, v26
	s_wait_alu 0xf1ff
	v_add_co_ci_u32_e64 v27, s0, s5, v27, s0
	v_mul_hi_u32 v16, 0xaaaaaaab, v23
	s_delay_alu instid0(VALU_DEP_4)
	v_add_co_u32 v30, s0, s4, v30
	global_load_b128 v[26:29], v[26:27], off offset:128
	s_wait_alu 0xf1ff
	v_add_co_ci_u32_e64 v31, s0, s5, v31, s0
	v_lshlrev_b64_e32 v[34:35], 3, v[0:1]
	v_add_co_u32 v1, s0, s8, v2
	global_load_b128 v[30:33], v[30:31], off offset:128
	v_lshrrev_b32_e32 v16, 4, v16
	s_wait_alu 0xf1ff
	v_add_co_ci_u32_e64 v2, s0, s9, v3, s0
	v_add_co_u32 v1, s0, v1, v34
	s_delay_alu instid0(VALU_DEP_3) | instskip(SKIP_1) | instid1(VALU_DEP_3)
	v_mul_u32_u24_e32 v16, 48, v16
	s_wait_alu 0xf1ff
	v_add_co_ci_u32_e64 v2, s0, v2, v35, s0
	s_delay_alu instid0(VALU_DEP_2) | instskip(NEXT) | instid1(VALU_DEP_1)
	v_lshlrev_b64_e32 v[34:35], 3, v[16:17]
	v_add_co_u32 v34, s0, v1, v34
	s_wait_alu 0xf1ff
	s_delay_alu instid0(VALU_DEP_2)
	v_add_co_ci_u32_e64 v35, s0, v2, v35, s0
	s_wait_loadcnt 0x1
	v_dual_mul_f32 v3, v14, v27 :: v_dual_mul_f32 v16, v24, v29
	s_wait_dscnt 0x2
	v_mul_f32_e32 v23, v20, v27
	s_wait_dscnt 0x0
	v_mul_f32_e32 v27, v25, v29
	v_fma_f32 v3, v20, v26, -v3
	v_fma_f32 v16, v25, v28, -v16
	s_wait_loadcnt 0x0
	v_mul_f32_e32 v25, v21, v33
	v_dual_fmac_f32 v27, v24, v28 :: v_dual_mul_f32 v24, v19, v31
	v_dual_mul_f32 v20, v15, v33 :: v_dual_fmac_f32 v23, v14, v26
	v_mul_f32_e32 v14, v13, v31
	v_add_f32_e32 v26, v3, v16
	s_delay_alu instid0(VALU_DEP_4) | instskip(NEXT) | instid1(VALU_DEP_4)
	v_dual_fmac_f32 v24, v13, v30 :: v_dual_fmac_f32 v25, v15, v32
	v_add_f32_e32 v29, v23, v27
	v_sub_f32_e32 v31, v3, v16
	v_add_f32_e32 v3, v18, v3
	v_fma_f32 v19, v19, v30, -v14
	v_fma_f32 v20, v21, v32, -v20
	v_fma_f32 v13, -0.5, v26, v18
	v_add_f32_e32 v26, v5, v24
	v_sub_f32_e32 v28, v23, v27
	v_add_f32_e32 v18, v24, v25
	v_add_f32_e32 v23, v12, v23
	v_dual_add_f32 v15, v3, v16 :: v_dual_sub_f32 v16, v24, v25
	v_fma_f32 v12, -0.5, v29, v12
	v_add_f32_e32 v3, v19, v20
	s_delay_alu instid0(VALU_DEP_4) | instskip(SKIP_3) | instid1(VALU_DEP_3)
	v_add_f32_e32 v14, v23, v27
	v_add_f32_e32 v23, v11, v19
	v_sub_f32_e32 v27, v19, v20
	v_fma_f32 v18, -0.5, v18, v5
	v_add_f32_e32 v24, v23, v20
	v_fmamk_f32 v20, v31, 0x3f5db3d7, v12
	v_fmac_f32_e32 v12, 0xbf5db3d7, v31
	v_fma_f32 v19, -0.5, v3, v11
	v_add_f32_e32 v23, v26, v25
	v_fmamk_f32 v21, v28, 0xbf5db3d7, v13
	v_fmamk_f32 v25, v27, 0x3f5db3d7, v18
	v_fmac_f32_e32 v18, 0xbf5db3d7, v27
	v_fmamk_f32 v26, v16, 0xbf5db3d7, v19
	v_fmac_f32_e32 v19, 0x3f5db3d7, v16
	v_fmac_f32_e32 v13, 0x3f5db3d7, v28
	s_clause 0x5
	global_store_b64 v[1:2], v[23:24], off
	global_store_b64 v[1:2], v[18:19], off offset:192
	global_store_b64 v[1:2], v[25:26], off offset:384
	;; [unrolled: 1-line block ×5, first 2 shown]
	s_and_b32 exec_lo, exec_lo, vcc_lo
	s_cbranch_execz .LBB0_25
; %bb.24:
	v_add_nc_u32_e32 v0, -6, v0
	s_delay_alu instid0(VALU_DEP_1) | instskip(NEXT) | instid1(VALU_DEP_1)
	v_cndmask_b32_e32 v0, v0, v22, vcc_lo
	v_lshlrev_b32_e32 v16, 1, v0
	s_delay_alu instid0(VALU_DEP_1) | instskip(NEXT) | instid1(VALU_DEP_1)
	v_lshlrev_b64_e32 v[11:12], 3, v[16:17]
	v_add_co_u32 v11, vcc_lo, s4, v11
	s_wait_alu 0xfffd
	s_delay_alu instid0(VALU_DEP_2)
	v_add_co_ci_u32_e32 v12, vcc_lo, s5, v12, vcc_lo
	global_load_b128 v[11:14], v[11:12], off offset:128
	s_wait_loadcnt 0x0
	v_mul_f32_e32 v0, v8, v12
	v_mul_f32_e32 v3, v4, v14
	;; [unrolled: 1-line block ×3, first 2 shown]
	s_delay_alu instid0(VALU_DEP_3) | instskip(NEXT) | instid1(VALU_DEP_2)
	v_fma_f32 v0, v10, v11, -v0
	v_dual_fmac_f32 v5, v8, v11 :: v_dual_mul_f32 v12, v6, v14
	s_delay_alu instid0(VALU_DEP_4) | instskip(NEXT) | instid1(VALU_DEP_1)
	v_fma_f32 v6, v6, v13, -v3
	v_dual_add_f32 v8, v9, v0 :: v_dual_add_f32 v3, v0, v6
	s_delay_alu instid0(VALU_DEP_1) | instskip(NEXT) | instid1(VALU_DEP_4)
	v_fmac_f32_e32 v9, -0.5, v3
	v_add_f32_e32 v3, v7, v5
	v_fmac_f32_e32 v12, v4, v13
	s_delay_alu instid0(VALU_DEP_1) | instskip(NEXT) | instid1(VALU_DEP_1)
	v_add_f32_e32 v4, v5, v12
	v_dual_fmac_f32 v7, -0.5, v4 :: v_dual_sub_f32 v0, v0, v6
	v_sub_f32_e32 v10, v5, v12
	v_add_f32_e32 v5, v3, v12
	s_delay_alu instid0(VALU_DEP_3) | instskip(NEXT) | instid1(VALU_DEP_3)
	v_fmamk_f32 v3, v0, 0xbf5db3d7, v7
	v_fmamk_f32 v4, v10, 0x3f5db3d7, v9
	v_fmac_f32_e32 v9, 0xbf5db3d7, v10
	v_dual_add_f32 v6, v8, v6 :: v_dual_fmac_f32 v7, 0x3f5db3d7, v0
	s_delay_alu instid0(VALU_DEP_2)
	v_mov_b32_e32 v8, v9
	s_clause 0x2
	global_store_b64 v[1:2], v[5:6], off offset:144
	global_store_b64 v[1:2], v[3:4], off offset:336
	;; [unrolled: 1-line block ×3, first 2 shown]
.LBB0_25:
	s_nop 0
	s_sendmsg sendmsg(MSG_DEALLOC_VGPRS)
	s_endpgm
	.section	.rodata,"a",@progbits
	.p2align	6, 0x0
	.amdhsa_kernel fft_rtc_back_len72_factors_8_3_3_wgs_63_tpt_9_halfLds_sp_ip_CI_unitstride_sbrr_dirReg
		.amdhsa_group_segment_fixed_size 0
		.amdhsa_private_segment_fixed_size 0
		.amdhsa_kernarg_size 88
		.amdhsa_user_sgpr_count 2
		.amdhsa_user_sgpr_dispatch_ptr 0
		.amdhsa_user_sgpr_queue_ptr 0
		.amdhsa_user_sgpr_kernarg_segment_ptr 1
		.amdhsa_user_sgpr_dispatch_id 0
		.amdhsa_user_sgpr_private_segment_size 0
		.amdhsa_wavefront_size32 1
		.amdhsa_uses_dynamic_stack 0
		.amdhsa_enable_private_segment 0
		.amdhsa_system_sgpr_workgroup_id_x 1
		.amdhsa_system_sgpr_workgroup_id_y 0
		.amdhsa_system_sgpr_workgroup_id_z 0
		.amdhsa_system_sgpr_workgroup_info 0
		.amdhsa_system_vgpr_workitem_id 0
		.amdhsa_next_free_vgpr 45
		.amdhsa_next_free_sgpr 32
		.amdhsa_reserve_vcc 1
		.amdhsa_float_round_mode_32 0
		.amdhsa_float_round_mode_16_64 0
		.amdhsa_float_denorm_mode_32 3
		.amdhsa_float_denorm_mode_16_64 3
		.amdhsa_fp16_overflow 0
		.amdhsa_workgroup_processor_mode 1
		.amdhsa_memory_ordered 1
		.amdhsa_forward_progress 0
		.amdhsa_round_robin_scheduling 0
		.amdhsa_exception_fp_ieee_invalid_op 0
		.amdhsa_exception_fp_denorm_src 0
		.amdhsa_exception_fp_ieee_div_zero 0
		.amdhsa_exception_fp_ieee_overflow 0
		.amdhsa_exception_fp_ieee_underflow 0
		.amdhsa_exception_fp_ieee_inexact 0
		.amdhsa_exception_int_div_zero 0
	.end_amdhsa_kernel
	.text
.Lfunc_end0:
	.size	fft_rtc_back_len72_factors_8_3_3_wgs_63_tpt_9_halfLds_sp_ip_CI_unitstride_sbrr_dirReg, .Lfunc_end0-fft_rtc_back_len72_factors_8_3_3_wgs_63_tpt_9_halfLds_sp_ip_CI_unitstride_sbrr_dirReg
                                        ; -- End function
	.section	.AMDGPU.csdata,"",@progbits
; Kernel info:
; codeLenInByte = 3996
; NumSgprs: 34
; NumVgprs: 45
; ScratchSize: 0
; MemoryBound: 0
; FloatMode: 240
; IeeeMode: 1
; LDSByteSize: 0 bytes/workgroup (compile time only)
; SGPRBlocks: 4
; VGPRBlocks: 5
; NumSGPRsForWavesPerEU: 34
; NumVGPRsForWavesPerEU: 45
; Occupancy: 16
; WaveLimiterHint : 1
; COMPUTE_PGM_RSRC2:SCRATCH_EN: 0
; COMPUTE_PGM_RSRC2:USER_SGPR: 2
; COMPUTE_PGM_RSRC2:TRAP_HANDLER: 0
; COMPUTE_PGM_RSRC2:TGID_X_EN: 1
; COMPUTE_PGM_RSRC2:TGID_Y_EN: 0
; COMPUTE_PGM_RSRC2:TGID_Z_EN: 0
; COMPUTE_PGM_RSRC2:TIDIG_COMP_CNT: 0
	.text
	.p2alignl 7, 3214868480
	.fill 96, 4, 3214868480
	.type	__hip_cuid_43ca8e650dc00dca,@object ; @__hip_cuid_43ca8e650dc00dca
	.section	.bss,"aw",@nobits
	.globl	__hip_cuid_43ca8e650dc00dca
__hip_cuid_43ca8e650dc00dca:
	.byte	0                               ; 0x0
	.size	__hip_cuid_43ca8e650dc00dca, 1

	.ident	"AMD clang version 19.0.0git (https://github.com/RadeonOpenCompute/llvm-project roc-6.4.0 25133 c7fe45cf4b819c5991fe208aaa96edf142730f1d)"
	.section	".note.GNU-stack","",@progbits
	.addrsig
	.addrsig_sym __hip_cuid_43ca8e650dc00dca
	.amdgpu_metadata
---
amdhsa.kernels:
  - .args:
      - .actual_access:  read_only
        .address_space:  global
        .offset:         0
        .size:           8
        .value_kind:     global_buffer
      - .offset:         8
        .size:           8
        .value_kind:     by_value
      - .actual_access:  read_only
        .address_space:  global
        .offset:         16
        .size:           8
        .value_kind:     global_buffer
      - .actual_access:  read_only
        .address_space:  global
        .offset:         24
        .size:           8
        .value_kind:     global_buffer
      - .offset:         32
        .size:           8
        .value_kind:     by_value
      - .actual_access:  read_only
        .address_space:  global
        .offset:         40
        .size:           8
        .value_kind:     global_buffer
      - .actual_access:  read_only
        .address_space:  global
        .offset:         48
        .size:           8
        .value_kind:     global_buffer
      - .offset:         56
        .size:           4
        .value_kind:     by_value
      - .actual_access:  read_only
        .address_space:  global
        .offset:         64
        .size:           8
        .value_kind:     global_buffer
      - .actual_access:  read_only
        .address_space:  global
        .offset:         72
        .size:           8
        .value_kind:     global_buffer
      - .address_space:  global
        .offset:         80
        .size:           8
        .value_kind:     global_buffer
    .group_segment_fixed_size: 0
    .kernarg_segment_align: 8
    .kernarg_segment_size: 88
    .language:       OpenCL C
    .language_version:
      - 2
      - 0
    .max_flat_workgroup_size: 63
    .name:           fft_rtc_back_len72_factors_8_3_3_wgs_63_tpt_9_halfLds_sp_ip_CI_unitstride_sbrr_dirReg
    .private_segment_fixed_size: 0
    .sgpr_count:     34
    .sgpr_spill_count: 0
    .symbol:         fft_rtc_back_len72_factors_8_3_3_wgs_63_tpt_9_halfLds_sp_ip_CI_unitstride_sbrr_dirReg.kd
    .uniform_work_group_size: 1
    .uses_dynamic_stack: false
    .vgpr_count:     45
    .vgpr_spill_count: 0
    .wavefront_size: 32
    .workgroup_processor_mode: 1
amdhsa.target:   amdgcn-amd-amdhsa--gfx1201
amdhsa.version:
  - 1
  - 2
...

	.end_amdgpu_metadata
